;; amdgpu-corpus repo=ROCm/rocFFT kind=compiled arch=gfx906 opt=O3
	.text
	.amdgcn_target "amdgcn-amd-amdhsa--gfx906"
	.amdhsa_code_object_version 6
	.protected	fft_rtc_back_len312_factors_13_4_3_2_wgs_52_tpt_26_dp_op_CI_CI_unitstride_sbrr_dirReg ; -- Begin function fft_rtc_back_len312_factors_13_4_3_2_wgs_52_tpt_26_dp_op_CI_CI_unitstride_sbrr_dirReg
	.globl	fft_rtc_back_len312_factors_13_4_3_2_wgs_52_tpt_26_dp_op_CI_CI_unitstride_sbrr_dirReg
	.p2align	8
	.type	fft_rtc_back_len312_factors_13_4_3_2_wgs_52_tpt_26_dp_op_CI_CI_unitstride_sbrr_dirReg,@function
fft_rtc_back_len312_factors_13_4_3_2_wgs_52_tpt_26_dp_op_CI_CI_unitstride_sbrr_dirReg: ; @fft_rtc_back_len312_factors_13_4_3_2_wgs_52_tpt_26_dp_op_CI_CI_unitstride_sbrr_dirReg
; %bb.0:
	s_load_dwordx4 s[8:11], s[4:5], 0x58
	s_load_dwordx4 s[12:15], s[4:5], 0x0
	;; [unrolled: 1-line block ×3, first 2 shown]
	v_mul_u32_u24_e32 v1, 0x9d9, v0
	v_lshrrev_b32_e32 v58, 16, v1
	v_mov_b32_e32 v1, 0
	s_waitcnt lgkmcnt(0)
	v_cmp_lt_u64_e64 s[0:1], s[14:15], 2
	v_mov_b32_e32 v4, 0
	v_lshl_add_u32 v6, s6, 1, v58
	v_mov_b32_e32 v7, v1
	s_and_b64 vcc, exec, s[0:1]
	v_mov_b32_e32 v5, 0
	s_cbranch_vccnz .LBB0_8
; %bb.1:
	s_load_dwordx2 s[0:1], s[4:5], 0x10
	s_add_u32 s2, s18, 8
	s_addc_u32 s3, s19, 0
	s_add_u32 s6, s16, 8
	v_mov_b32_e32 v4, 0
	s_addc_u32 s7, s17, 0
	v_mov_b32_e32 v5, 0
	s_waitcnt lgkmcnt(0)
	s_add_u32 s20, s0, 8
	v_mov_b32_e32 v53, v5
	s_addc_u32 s21, s1, 0
	s_mov_b64 s[22:23], 1
	v_mov_b32_e32 v52, v4
.LBB0_2:                                ; =>This Inner Loop Header: Depth=1
	s_load_dwordx2 s[24:25], s[20:21], 0x0
                                        ; implicit-def: $vgpr56_vgpr57
	s_waitcnt lgkmcnt(0)
	v_or_b32_e32 v2, s25, v7
	v_cmp_ne_u64_e32 vcc, 0, v[1:2]
	s_and_saveexec_b64 s[0:1], vcc
	s_xor_b64 s[26:27], exec, s[0:1]
	s_cbranch_execz .LBB0_4
; %bb.3:                                ;   in Loop: Header=BB0_2 Depth=1
	v_cvt_f32_u32_e32 v2, s24
	v_cvt_f32_u32_e32 v3, s25
	s_sub_u32 s0, 0, s24
	s_subb_u32 s1, 0, s25
	v_mac_f32_e32 v2, 0x4f800000, v3
	v_rcp_f32_e32 v2, v2
	v_mul_f32_e32 v2, 0x5f7ffffc, v2
	v_mul_f32_e32 v3, 0x2f800000, v2
	v_trunc_f32_e32 v3, v3
	v_mac_f32_e32 v2, 0xcf800000, v3
	v_cvt_u32_f32_e32 v3, v3
	v_cvt_u32_f32_e32 v2, v2
	v_mul_lo_u32 v8, s0, v3
	v_mul_hi_u32 v9, s0, v2
	v_mul_lo_u32 v11, s1, v2
	v_mul_lo_u32 v10, s0, v2
	v_add_u32_e32 v8, v9, v8
	v_add_u32_e32 v8, v8, v11
	v_mul_hi_u32 v9, v2, v10
	v_mul_lo_u32 v11, v2, v8
	v_mul_hi_u32 v13, v2, v8
	v_mul_hi_u32 v12, v3, v10
	v_mul_lo_u32 v10, v3, v10
	v_mul_hi_u32 v14, v3, v8
	v_add_co_u32_e32 v9, vcc, v9, v11
	v_addc_co_u32_e32 v11, vcc, 0, v13, vcc
	v_mul_lo_u32 v8, v3, v8
	v_add_co_u32_e32 v9, vcc, v9, v10
	v_addc_co_u32_e32 v9, vcc, v11, v12, vcc
	v_addc_co_u32_e32 v10, vcc, 0, v14, vcc
	v_add_co_u32_e32 v8, vcc, v9, v8
	v_addc_co_u32_e32 v9, vcc, 0, v10, vcc
	v_add_co_u32_e32 v2, vcc, v2, v8
	v_addc_co_u32_e32 v3, vcc, v3, v9, vcc
	v_mul_lo_u32 v8, s0, v3
	v_mul_hi_u32 v9, s0, v2
	v_mul_lo_u32 v10, s1, v2
	v_mul_lo_u32 v11, s0, v2
	v_add_u32_e32 v8, v9, v8
	v_add_u32_e32 v8, v8, v10
	v_mul_lo_u32 v12, v2, v8
	v_mul_hi_u32 v13, v2, v11
	v_mul_hi_u32 v14, v2, v8
	;; [unrolled: 1-line block ×3, first 2 shown]
	v_mul_lo_u32 v11, v3, v11
	v_mul_hi_u32 v9, v3, v8
	v_add_co_u32_e32 v12, vcc, v13, v12
	v_addc_co_u32_e32 v13, vcc, 0, v14, vcc
	v_mul_lo_u32 v8, v3, v8
	v_add_co_u32_e32 v11, vcc, v12, v11
	v_addc_co_u32_e32 v10, vcc, v13, v10, vcc
	v_addc_co_u32_e32 v9, vcc, 0, v9, vcc
	v_add_co_u32_e32 v8, vcc, v10, v8
	v_addc_co_u32_e32 v9, vcc, 0, v9, vcc
	v_add_co_u32_e32 v8, vcc, v2, v8
	v_addc_co_u32_e32 v9, vcc, v3, v9, vcc
	v_mad_u64_u32 v[2:3], s[0:1], v6, v9, 0
	v_mul_hi_u32 v10, v6, v8
	v_add_co_u32_e32 v10, vcc, v10, v2
	v_addc_co_u32_e32 v11, vcc, 0, v3, vcc
	v_mad_u64_u32 v[2:3], s[0:1], v7, v8, 0
	v_mad_u64_u32 v[8:9], s[0:1], v7, v9, 0
	v_add_co_u32_e32 v2, vcc, v10, v2
	v_addc_co_u32_e32 v2, vcc, v11, v3, vcc
	v_addc_co_u32_e32 v3, vcc, 0, v9, vcc
	v_add_co_u32_e32 v8, vcc, v2, v8
	v_addc_co_u32_e32 v9, vcc, 0, v3, vcc
	v_mul_lo_u32 v10, s25, v8
	v_mul_lo_u32 v11, s24, v9
	v_mad_u64_u32 v[2:3], s[0:1], s24, v8, 0
	v_add3_u32 v3, v3, v11, v10
	v_sub_u32_e32 v10, v7, v3
	v_mov_b32_e32 v11, s25
	v_sub_co_u32_e32 v2, vcc, v6, v2
	v_subb_co_u32_e64 v10, s[0:1], v10, v11, vcc
	v_subrev_co_u32_e64 v11, s[0:1], s24, v2
	v_subbrev_co_u32_e64 v10, s[0:1], 0, v10, s[0:1]
	v_cmp_le_u32_e64 s[0:1], s25, v10
	v_cndmask_b32_e64 v12, 0, -1, s[0:1]
	v_cmp_le_u32_e64 s[0:1], s24, v11
	v_cndmask_b32_e64 v11, 0, -1, s[0:1]
	v_cmp_eq_u32_e64 s[0:1], s25, v10
	v_cndmask_b32_e64 v10, v12, v11, s[0:1]
	v_add_co_u32_e64 v11, s[0:1], 2, v8
	v_addc_co_u32_e64 v12, s[0:1], 0, v9, s[0:1]
	v_add_co_u32_e64 v13, s[0:1], 1, v8
	v_addc_co_u32_e64 v14, s[0:1], 0, v9, s[0:1]
	v_subb_co_u32_e32 v3, vcc, v7, v3, vcc
	v_cmp_ne_u32_e64 s[0:1], 0, v10
	v_cmp_le_u32_e32 vcc, s25, v3
	v_cndmask_b32_e64 v10, v14, v12, s[0:1]
	v_cndmask_b32_e64 v12, 0, -1, vcc
	v_cmp_le_u32_e32 vcc, s24, v2
	v_cndmask_b32_e64 v2, 0, -1, vcc
	v_cmp_eq_u32_e32 vcc, s25, v3
	v_cndmask_b32_e32 v2, v12, v2, vcc
	v_cmp_ne_u32_e32 vcc, 0, v2
	v_cndmask_b32_e64 v2, v13, v11, s[0:1]
	v_cndmask_b32_e32 v57, v9, v10, vcc
	v_cndmask_b32_e32 v56, v8, v2, vcc
.LBB0_4:                                ;   in Loop: Header=BB0_2 Depth=1
	s_andn2_saveexec_b64 s[0:1], s[26:27]
	s_cbranch_execz .LBB0_6
; %bb.5:                                ;   in Loop: Header=BB0_2 Depth=1
	v_cvt_f32_u32_e32 v2, s24
	s_sub_i32 s26, 0, s24
	v_mov_b32_e32 v57, v1
	v_rcp_iflag_f32_e32 v2, v2
	v_mul_f32_e32 v2, 0x4f7ffffe, v2
	v_cvt_u32_f32_e32 v2, v2
	v_mul_lo_u32 v3, s26, v2
	v_mul_hi_u32 v3, v2, v3
	v_add_u32_e32 v2, v2, v3
	v_mul_hi_u32 v2, v6, v2
	v_mul_lo_u32 v3, v2, s24
	v_add_u32_e32 v8, 1, v2
	v_sub_u32_e32 v3, v6, v3
	v_subrev_u32_e32 v9, s24, v3
	v_cmp_le_u32_e32 vcc, s24, v3
	v_cndmask_b32_e32 v3, v3, v9, vcc
	v_cndmask_b32_e32 v2, v2, v8, vcc
	v_add_u32_e32 v8, 1, v2
	v_cmp_le_u32_e32 vcc, s24, v3
	v_cndmask_b32_e32 v56, v2, v8, vcc
.LBB0_6:                                ;   in Loop: Header=BB0_2 Depth=1
	s_or_b64 exec, exec, s[0:1]
	v_mul_lo_u32 v8, v57, s24
	v_mul_lo_u32 v9, v56, s25
	v_mad_u64_u32 v[2:3], s[0:1], v56, s24, 0
	s_load_dwordx2 s[0:1], s[6:7], 0x0
	s_load_dwordx2 s[24:25], s[2:3], 0x0
	v_add3_u32 v3, v3, v9, v8
	v_sub_co_u32_e32 v2, vcc, v6, v2
	v_subb_co_u32_e32 v3, vcc, v7, v3, vcc
	s_waitcnt lgkmcnt(0)
	v_mul_lo_u32 v6, s0, v3
	v_mul_lo_u32 v7, s1, v2
	v_mad_u64_u32 v[4:5], s[0:1], s0, v2, v[4:5]
	v_mul_lo_u32 v3, s24, v3
	v_mul_lo_u32 v8, s25, v2
	v_mad_u64_u32 v[52:53], s[0:1], s24, v2, v[52:53]
	s_add_u32 s22, s22, 1
	s_addc_u32 s23, s23, 0
	s_add_u32 s2, s2, 8
	v_add3_u32 v53, v8, v53, v3
	s_addc_u32 s3, s3, 0
	v_mov_b32_e32 v2, s14
	s_add_u32 s6, s6, 8
	v_mov_b32_e32 v3, s15
	s_addc_u32 s7, s7, 0
	v_cmp_ge_u64_e32 vcc, s[22:23], v[2:3]
	s_add_u32 s20, s20, 8
	v_add3_u32 v5, v7, v5, v6
	s_addc_u32 s21, s21, 0
	s_cbranch_vccnz .LBB0_9
; %bb.7:                                ;   in Loop: Header=BB0_2 Depth=1
	v_mov_b32_e32 v6, v56
	v_mov_b32_e32 v7, v57
	s_branch .LBB0_2
.LBB0_8:
	v_mov_b32_e32 v53, v5
	v_mov_b32_e32 v57, v7
	;; [unrolled: 1-line block ×4, first 2 shown]
.LBB0_9:
	s_load_dwordx2 s[0:1], s[4:5], 0x28
	s_mov_b32 s4, 0x9d89d8a
	v_mul_hi_u32 v1, v0, s4
	s_lshl_b64 s[2:3], s[14:15], 3
	s_add_u32 s4, s18, s2
	s_waitcnt lgkmcnt(0)
	v_cmp_gt_u64_e32 vcc, s[0:1], v[56:57]
	v_mul_u32_u24_e32 v1, 26, v1
	v_sub_u32_e32 v54, v0, v1
	v_cmp_gt_u32_e64 s[0:1], 24, v54
	s_addc_u32 s5, s19, s3
	s_and_b64 s[14:15], vcc, s[0:1]
                                        ; implicit-def: $vgpr6_vgpr7
                                        ; implicit-def: $vgpr22_vgpr23
                                        ; implicit-def: $vgpr46_vgpr47
                                        ; implicit-def: $vgpr10_vgpr11
                                        ; implicit-def: $vgpr38_vgpr39
                                        ; implicit-def: $vgpr30_vgpr31
                                        ; implicit-def: $vgpr14_vgpr15
                                        ; implicit-def: $vgpr26_vgpr27
                                        ; implicit-def: $vgpr42_vgpr43
                                        ; implicit-def: $vgpr18_vgpr19
                                        ; implicit-def: $vgpr50_vgpr51
                                        ; implicit-def: $vgpr34_vgpr35
                                        ; implicit-def: $vgpr2_vgpr3
	s_and_saveexec_b64 s[6:7], s[14:15]
	s_cbranch_execz .LBB0_11
; %bb.10:
	s_add_u32 s2, s16, s2
	s_addc_u32 s3, s17, s3
	s_load_dwordx2 s[2:3], s[2:3], 0x0
	v_mov_b32_e32 v6, s9
	v_mov_b32_e32 v55, 0
	v_or_b32_e32 v8, 0x120, v54
	v_mov_b32_e32 v9, v55
	s_waitcnt lgkmcnt(0)
	v_mul_lo_u32 v2, s3, v56
	v_mul_lo_u32 v3, s2, v57
	v_mad_u64_u32 v[0:1], s[2:3], s2, v56, 0
	v_lshlrev_b64 v[8:9], 4, v[8:9]
	v_add3_u32 v1, v1, v3, v2
	v_lshlrev_b64 v[0:1], 4, v[0:1]
	v_add_co_u32_e64 v2, s[2:3], s8, v0
	v_addc_co_u32_e64 v3, s[2:3], v6, v1, s[2:3]
	v_lshlrev_b64 v[0:1], 4, v[4:5]
	v_add_co_u32_e64 v10, s[2:3], v2, v0
	v_addc_co_u32_e64 v11, s[2:3], v3, v1, s[2:3]
	;; [unrolled: 3-line block ×3, first 2 shown]
	s_movk_i32 s2, 0x1000
	v_add_co_u32_e64 v61, s[2:3], s2, v59
	v_addc_co_u32_e64 v62, s[2:3], 0, v60, s[2:3]
	v_add_co_u32_e64 v63, s[2:3], v10, v8
	global_load_dwordx4 v[0:3], v[59:60], off
	global_load_dwordx4 v[4:7], v[59:60], off offset:384
	global_load_dwordx4 v[20:23], v[59:60], off offset:768
	global_load_dwordx4 v[32:35], v[59:60], off offset:1152
	v_addc_co_u32_e64 v64, s[2:3], v11, v9, s[2:3]
	global_load_dwordx4 v[48:51], v[59:60], off offset:1536
	global_load_dwordx4 v[44:47], v[59:60], off offset:1920
	;; [unrolled: 1-line block ×8, first 2 shown]
	global_load_dwordx4 v[12:15], v[63:64], off
.LBB0_11:
	s_or_b64 exec, exec, s[6:7]
	v_and_b32_e32 v55, 1, v58
	v_mov_b32_e32 v58, 0x138
	v_cmp_eq_u32_e64 s[2:3], 1, v55
	v_cndmask_b32_e64 v55, 0, v58, s[2:3]
	s_and_saveexec_b64 s[2:3], s[0:1]
	s_cbranch_execz .LBB0_13
; %bb.12:
	s_waitcnt vmcnt(11)
	v_add_f64 v[64:65], v[6:7], v[2:3]
	v_add_f64 v[66:67], v[4:5], v[0:1]
	s_waitcnt vmcnt(2)
	v_add_f64 v[80:81], v[32:33], -v[28:29]
	v_add_f64 v[72:73], v[30:31], v[34:35]
	s_waitcnt vmcnt(1)
	v_add_f64 v[84:85], v[20:21], -v[24:25]
	v_add_f64 v[76:77], v[48:49], -v[36:37]
	v_add_f64 v[74:75], v[36:37], v[48:49]
	s_mov_b32 s0, 0x4bc48dbf
	v_add_f64 v[78:79], v[22:23], v[64:65]
	v_add_f64 v[82:83], v[20:21], v[66:67]
	;; [unrolled: 1-line block ×3, first 2 shown]
	v_add_f64 v[64:65], v[50:51], -v[38:39]
	s_mov_b32 s8, 0x93053d00
	s_mov_b32 s1, 0xbfcea1e5
	;; [unrolled: 1-line block ×3, first 2 shown]
	v_add_f64 v[70:71], v[44:45], -v[40:41]
	v_add_f64 v[86:87], v[34:35], v[78:79]
	v_add_f64 v[88:89], v[32:33], v[82:83]
	;; [unrolled: 1-line block ×3, first 2 shown]
	v_add_f64 v[32:33], v[34:35], -v[30:31]
	v_add_f64 v[34:35], v[22:23], v[26:27]
	v_add_f64 v[82:83], v[20:21], v[24:25]
	v_add_f64 v[20:21], v[22:23], -v[26:27]
	v_add_f64 v[62:63], v[46:47], v[42:43]
	v_add_f64 v[22:23], v[50:51], v[86:87]
	;; [unrolled: 1-line block ×3, first 2 shown]
	s_waitcnt vmcnt(0)
	v_add_f64 v[88:89], v[4:5], -v[12:13]
	v_add_f64 v[50:51], v[6:7], v[14:15]
	v_add_f64 v[86:87], v[4:5], v[12:13]
	v_add_f64 v[48:49], v[6:7], -v[14:15]
	v_add_f64 v[68:69], v[44:45], v[40:41]
	v_add_f64 v[60:61], v[46:47], -v[42:43]
	v_add_f64 v[4:5], v[46:47], v[22:23]
	v_add_f64 v[6:7], v[44:45], v[90:91]
	v_mul_f64 v[44:45], v[88:89], s[0:1]
	s_mov_b32 s6, 0x4267c47c
	v_mul_f64 v[46:47], v[86:87], s[8:9]
	s_mov_b32 s14, 0xe00740e9
	s_mov_b32 s7, 0x3fddbe06
	;; [unrolled: 1-line block ×3, first 2 shown]
	v_add_f64 v[4:5], v[10:11], v[4:5]
	v_add_f64 v[6:7], v[8:9], v[6:7]
	s_mov_b32 s19, 0x3fcea1e5
	s_mov_b32 s18, s0
	v_mul_f64 v[90:91], v[84:85], s[6:7]
	v_mul_f64 v[92:93], v[82:83], s[14:15]
	v_fma_f64 v[22:23], v[50:51], s[8:9], v[44:45]
	s_mov_b32 s20, 0x24c2f84
	v_add_f64 v[4:5], v[18:19], v[4:5]
	v_add_f64 v[6:7], v[16:17], v[6:7]
	s_mov_b32 s16, 0xd0032e0c
	s_mov_b32 s21, 0xbfe5384d
	;; [unrolled: 1-line block ×5, first 2 shown]
	v_fma_f64 v[94:95], v[34:35], s[14:15], v[90:91]
	v_add_f64 v[4:5], v[42:43], v[4:5]
	v_add_f64 v[6:7], v[40:41], v[6:7]
	v_fma_f64 v[40:41], v[48:49], s[18:19], v[46:47]
	v_mul_f64 v[42:43], v[80:81], s[20:21]
	v_fma_f64 v[96:97], v[20:21], s[22:23], v[92:93]
	v_add_f64 v[22:23], v[22:23], v[2:3]
	s_mov_b32 s26, 0x42a4c3d2
	s_mov_b32 s34, 0x1ea71119
	v_add_f64 v[4:5], v[38:39], v[4:5]
	v_add_f64 v[6:7], v[36:37], v[6:7]
	;; [unrolled: 1-line block ×3, first 2 shown]
	v_mul_f64 v[40:41], v[78:79], s[16:17]
	s_mov_b32 s27, 0x3fea55e2
	s_mov_b32 s25, 0x3fe5384d
	;; [unrolled: 1-line block ×4, first 2 shown]
	v_mul_f64 v[38:39], v[76:77], s[26:27]
	v_fma_f64 v[98:99], v[72:73], s[16:17], v[42:43]
	v_add_f64 v[4:5], v[30:31], v[4:5]
	v_add_f64 v[6:7], v[28:29], v[6:7]
	;; [unrolled: 1-line block ×4, first 2 shown]
	v_fma_f64 v[30:31], v[32:33], s[24:25], v[40:41]
	v_mul_f64 v[36:37], v[74:75], s[34:35]
	s_mov_b32 s36, 0x2ef20147
	s_mov_b32 s28, 0xb2365da1
	;; [unrolled: 1-line block ×6, first 2 shown]
	v_add_f64 v[58:59], v[8:9], -v[16:17]
	v_fma_f64 v[94:95], v[66:67], s[34:35], v[38:39]
	v_add_f64 v[22:23], v[98:99], v[22:23]
	v_mul_f64 v[96:97], v[70:71], s[36:37]
	v_add_f64 v[28:29], v[30:31], v[28:29]
	v_fma_f64 v[30:31], v[64:65], s[42:43], v[36:37]
	v_mul_f64 v[98:99], v[68:69], s[28:29]
	v_add_f64 v[4:5], v[26:27], v[4:5]
	v_add_f64 v[100:101], v[24:25], v[6:7]
	;; [unrolled: 1-line block ×3, first 2 shown]
	v_fma_f64 v[8:9], v[50:51], s[8:9], -v[44:45]
	s_mov_b32 s38, 0x66966769
	s_mov_b32 s31, 0x3fedeba7
	;; [unrolled: 1-line block ×4, first 2 shown]
	v_add_f64 v[94:95], v[94:95], v[22:23]
	v_fma_f64 v[102:103], v[62:63], s[28:29], v[96:97]
	v_add_f64 v[28:29], v[30:31], v[28:29]
	v_fma_f64 v[30:31], v[60:61], s[30:31], v[98:99]
	v_add_f64 v[22:23], v[10:11], v[18:19]
	v_add_f64 v[26:27], v[10:11], -v[18:19]
	v_add_f64 v[6:7], v[14:15], v[4:5]
	v_fma_f64 v[14:15], v[34:35], s[14:15], -v[90:91]
	v_fma_f64 v[16:17], v[48:49], s[0:1], v[46:47]
	v_add_f64 v[8:9], v[8:9], v[2:3]
	v_mul_f64 v[18:19], v[58:59], s[38:39]
	s_mov_b32 s40, 0xebaa3ed8
	s_mov_b32 s41, 0x3fbedb7d
	v_add_f64 v[4:5], v[12:13], v[100:101]
	v_add_f64 v[10:11], v[102:103], v[94:95]
	v_add_f64 v[12:13], v[30:31], v[28:29]
	v_fma_f64 v[28:29], v[20:21], s[6:7], v[92:93]
	v_add_f64 v[16:17], v[16:17], v[0:1]
	v_mul_f64 v[30:31], v[24:25], s[40:41]
	v_add_f64 v[8:9], v[14:15], v[8:9]
	v_fma_f64 v[14:15], v[72:73], s[16:17], -v[42:43]
	v_fma_f64 v[42:43], v[22:23], s[40:41], v[18:19]
	v_mul_f64 v[44:45], v[88:89], s[20:21]
	s_mov_b32 s45, 0xbfefc445
	s_mov_b32 s44, s38
	v_add_f64 v[16:17], v[28:29], v[16:17]
	v_fma_f64 v[28:29], v[32:33], s[20:21], v[40:41]
	v_fma_f64 v[40:41], v[26:27], s[44:45], v[30:31]
	v_add_f64 v[14:15], v[14:15], v[8:9]
	v_fma_f64 v[38:39], v[66:67], s[34:35], -v[38:39]
	v_add_f64 v[10:11], v[42:43], v[10:11]
	v_fma_f64 v[42:43], v[50:51], s[16:17], v[44:45]
	v_mul_f64 v[46:47], v[84:85], s[38:39]
	v_mul_f64 v[90:91], v[86:87], s[16:17]
	v_add_f64 v[16:17], v[28:29], v[16:17]
	v_fma_f64 v[28:29], v[64:65], s[26:27], v[36:37]
	v_add_f64 v[8:9], v[40:41], v[12:13]
	v_add_f64 v[12:13], v[38:39], v[14:15]
	v_fma_f64 v[14:15], v[62:63], s[28:29], -v[96:97]
	v_add_f64 v[36:37], v[42:43], v[2:3]
	v_fma_f64 v[38:39], v[34:35], s[40:41], v[46:47]
	v_fma_f64 v[40:41], v[48:49], s[24:25], v[90:91]
	v_mul_f64 v[42:43], v[82:83], s[40:41]
	v_add_f64 v[16:17], v[28:29], v[16:17]
	v_mul_f64 v[28:29], v[80:81], s[42:43]
	v_fma_f64 v[92:93], v[60:61], s[36:37], v[98:99]
	v_add_f64 v[12:13], v[14:15], v[12:13]
	v_fma_f64 v[14:15], v[22:23], s[40:41], -v[18:19]
	v_add_f64 v[18:19], v[38:39], v[36:37]
	v_add_f64 v[36:37], v[40:41], v[0:1]
	v_fma_f64 v[38:39], v[20:21], s[44:45], v[42:43]
	v_mul_f64 v[40:41], v[78:79], s[34:35]
	v_fma_f64 v[94:95], v[72:73], s[34:35], v[28:29]
	v_add_f64 v[16:17], v[92:93], v[16:17]
	v_fma_f64 v[30:31], v[26:27], s[38:39], v[30:31]
	v_mul_f64 v[92:93], v[76:77], s[18:19]
	v_fma_f64 v[44:45], v[50:51], s[16:17], -v[44:45]
	v_add_f64 v[14:15], v[14:15], v[12:13]
	v_add_f64 v[36:37], v[38:39], v[36:37]
	v_fma_f64 v[38:39], v[32:33], s[26:27], v[40:41]
	v_add_f64 v[18:19], v[94:95], v[18:19]
	v_mul_f64 v[94:95], v[74:75], s[8:9]
	v_add_f64 v[12:13], v[30:31], v[16:17]
	v_fma_f64 v[96:97], v[66:67], s[8:9], v[92:93]
	v_fma_f64 v[46:47], v[34:35], s[40:41], -v[46:47]
	v_add_f64 v[44:45], v[44:45], v[2:3]
	v_mul_f64 v[16:17], v[70:71], s[6:7]
	v_add_f64 v[30:31], v[38:39], v[36:37]
	v_fma_f64 v[36:37], v[48:49], s[20:21], v[90:91]
	v_fma_f64 v[38:39], v[64:65], s[0:1], v[94:95]
	v_mul_f64 v[90:91], v[68:69], s[14:15]
	v_fma_f64 v[42:43], v[20:21], s[38:39], v[42:43]
	v_add_f64 v[18:19], v[96:97], v[18:19]
	v_add_f64 v[44:45], v[46:47], v[44:45]
	v_fma_f64 v[28:29], v[72:73], s[34:35], -v[28:29]
	v_fma_f64 v[46:47], v[62:63], s[14:15], v[16:17]
	v_add_f64 v[36:37], v[36:37], v[0:1]
	v_add_f64 v[30:31], v[38:39], v[30:31]
	v_fma_f64 v[38:39], v[60:61], s[22:23], v[90:91]
	v_mul_f64 v[96:97], v[58:59], s[36:37]
	v_fma_f64 v[40:41], v[32:33], s[42:43], v[40:41]
	v_mul_f64 v[98:99], v[24:25], s[28:29]
	v_add_f64 v[28:29], v[28:29], v[44:45]
	v_fma_f64 v[44:45], v[66:67], s[8:9], -v[92:93]
	v_add_f64 v[36:37], v[42:43], v[36:37]
	v_add_f64 v[18:19], v[46:47], v[18:19]
	;; [unrolled: 1-line block ×3, first 2 shown]
	v_fma_f64 v[38:39], v[22:23], s[28:29], v[96:97]
	v_mul_f64 v[42:43], v[88:89], s[36:37]
	v_fma_f64 v[46:47], v[26:27], s[30:31], v[98:99]
	v_mul_f64 v[92:93], v[86:87], s[28:29]
	v_add_f64 v[28:29], v[44:45], v[28:29]
	v_add_f64 v[36:37], v[40:41], v[36:37]
	v_fma_f64 v[40:41], v[64:65], s[18:19], v[94:95]
	v_fma_f64 v[44:45], v[62:63], s[14:15], -v[16:17]
	v_add_f64 v[18:19], v[38:39], v[18:19]
	v_fma_f64 v[38:39], v[50:51], s[28:29], v[42:43]
	v_mul_f64 v[94:95], v[84:85], s[24:25]
	v_add_f64 v[16:17], v[46:47], v[30:31]
	v_fma_f64 v[30:31], v[48:49], s[30:31], v[92:93]
	v_fma_f64 v[96:97], v[22:23], s[28:29], -v[96:97]
	v_add_f64 v[36:37], v[40:41], v[36:37]
	v_fma_f64 v[40:41], v[60:61], s[6:7], v[90:91]
	v_add_f64 v[28:29], v[44:45], v[28:29]
	v_mul_f64 v[44:45], v[82:83], s[16:17]
	v_add_f64 v[38:39], v[38:39], v[2:3]
	v_fma_f64 v[46:47], v[34:35], s[16:17], v[94:95]
	v_mul_f64 v[90:91], v[80:81], s[6:7]
	v_add_f64 v[100:101], v[30:31], v[0:1]
	v_mul_f64 v[104:105], v[78:79], s[14:15]
	v_add_f64 v[36:37], v[40:41], v[36:37]
	v_fma_f64 v[40:41], v[26:27], s[36:37], v[98:99]
	v_fma_f64 v[102:103], v[20:21], s[20:21], v[44:45]
	v_mul_f64 v[98:99], v[76:77], s[44:45]
	v_add_f64 v[38:39], v[46:47], v[38:39]
	v_fma_f64 v[46:47], v[72:73], s[14:15], v[90:91]
	v_add_f64 v[30:31], v[96:97], v[28:29]
	v_fma_f64 v[94:95], v[34:35], s[16:17], -v[94:95]
	v_fma_f64 v[44:45], v[20:21], s[24:25], v[44:45]
	v_add_f64 v[28:29], v[40:41], v[36:37]
	v_fma_f64 v[36:37], v[50:51], s[28:29], -v[42:43]
	v_add_f64 v[96:97], v[102:103], v[100:101]
	v_fma_f64 v[100:101], v[32:33], s[22:23], v[104:105]
	v_mul_f64 v[102:103], v[74:75], s[40:41]
	v_add_f64 v[38:39], v[46:47], v[38:39]
	v_fma_f64 v[40:41], v[66:67], s[40:41], v[98:99]
	v_fma_f64 v[42:43], v[48:49], s[36:37], v[92:93]
	v_mul_f64 v[46:47], v[70:71], s[18:19]
	v_add_f64 v[36:37], v[36:37], v[2:3]
	v_mul_f64 v[106:107], v[58:59], s[26:27]
	v_add_f64 v[92:93], v[100:101], v[96:97]
	v_fma_f64 v[96:97], v[64:65], s[38:39], v[102:103]
	v_mul_f64 v[100:101], v[68:69], s[8:9]
	v_add_f64 v[38:39], v[40:41], v[38:39]
	v_add_f64 v[42:43], v[42:43], v[0:1]
	v_fma_f64 v[40:41], v[62:63], s[8:9], v[46:47]
	v_add_f64 v[36:37], v[94:95], v[36:37]
	v_fma_f64 v[90:91], v[72:73], s[14:15], -v[90:91]
	v_fma_f64 v[46:47], v[62:63], s[8:9], -v[46:47]
	v_add_f64 v[92:93], v[96:97], v[92:93]
	v_fma_f64 v[94:95], v[60:61], s[0:1], v[100:101]
	v_mul_f64 v[96:97], v[88:89], s[44:45]
	v_add_f64 v[42:43], v[44:45], v[42:43]
	v_fma_f64 v[44:45], v[32:33], s[6:7], v[104:105]
	v_add_f64 v[38:39], v[40:41], v[38:39]
	v_fma_f64 v[40:41], v[22:23], s[34:35], v[106:107]
	v_mul_f64 v[104:105], v[24:25], s[34:35]
	v_add_f64 v[36:37], v[90:91], v[36:37]
	v_fma_f64 v[90:91], v[66:67], s[40:41], -v[98:99]
	v_add_f64 v[92:93], v[94:95], v[92:93]
	v_mul_f64 v[94:95], v[84:85], s[0:1]
	v_add_f64 v[42:43], v[44:45], v[42:43]
	v_fma_f64 v[44:45], v[64:65], s[44:45], v[102:103]
	v_add_f64 v[38:39], v[40:41], v[38:39]
	v_fma_f64 v[40:41], v[50:51], s[40:41], v[96:97]
	v_fma_f64 v[98:99], v[26:27], s[42:43], v[104:105]
	v_add_f64 v[90:91], v[90:91], v[36:37]
	v_mul_f64 v[102:103], v[86:87], s[40:41]
	v_fma_f64 v[96:97], v[50:51], s[40:41], -v[96:97]
	v_mul_f64 v[108:109], v[78:79], s[28:29]
	v_add_f64 v[42:43], v[44:45], v[42:43]
	v_fma_f64 v[44:45], v[60:61], s[18:19], v[100:101]
	v_add_f64 v[40:41], v[40:41], v[2:3]
	v_fma_f64 v[100:101], v[34:35], s[8:9], v[94:95]
	v_add_f64 v[36:37], v[98:99], v[92:93]
	v_mul_f64 v[92:93], v[80:81], s[30:31]
	v_add_f64 v[46:47], v[46:47], v[90:91]
	v_fma_f64 v[90:91], v[48:49], s[38:39], v[102:103]
	v_mul_f64 v[98:99], v[82:83], s[8:9]
	v_fma_f64 v[102:103], v[48:49], s[44:45], v[102:103]
	v_add_f64 v[44:45], v[44:45], v[42:43]
	v_fma_f64 v[42:43], v[22:23], s[34:35], -v[106:107]
	v_add_f64 v[40:41], v[100:101], v[40:41]
	v_fma_f64 v[100:101], v[72:73], s[28:29], v[92:93]
	v_fma_f64 v[94:95], v[34:35], s[8:9], -v[94:95]
	v_add_f64 v[90:91], v[90:91], v[0:1]
	v_fma_f64 v[106:107], v[20:21], s[18:19], v[98:99]
	v_add_f64 v[96:97], v[96:97], v[2:3]
	v_fma_f64 v[98:99], v[20:21], s[0:1], v[98:99]
	v_add_f64 v[102:103], v[102:103], v[0:1]
	v_mul_f64 v[110:111], v[76:77], s[6:7]
	v_add_f64 v[40:41], v[100:101], v[40:41]
	v_fma_f64 v[100:101], v[32:33], s[36:37], v[108:109]
	v_fma_f64 v[92:93], v[72:73], s[28:29], -v[92:93]
	v_add_f64 v[90:91], v[106:107], v[90:91]
	v_mul_f64 v[106:107], v[74:75], s[14:15]
	v_add_f64 v[94:95], v[94:95], v[96:97]
	v_add_f64 v[96:97], v[98:99], v[102:103]
	v_fma_f64 v[98:99], v[32:33], s[30:31], v[108:109]
	v_fma_f64 v[112:113], v[66:67], s[14:15], v[110:111]
	v_mul_f64 v[102:103], v[70:71], s[42:43]
	v_mul_f64 v[108:109], v[68:69], s[34:35]
	v_add_f64 v[90:91], v[100:101], v[90:91]
	v_fma_f64 v[100:101], v[64:65], s[22:23], v[106:107]
	v_add_f64 v[92:93], v[92:93], v[94:95]
	v_fma_f64 v[94:95], v[66:67], s[14:15], -v[110:111]
	v_add_f64 v[96:97], v[98:99], v[96:97]
	v_fma_f64 v[98:99], v[64:65], s[6:7], v[106:107]
	v_add_f64 v[40:41], v[112:113], v[40:41]
	v_fma_f64 v[106:107], v[62:63], s[34:35], v[102:103]
	v_mul_f64 v[110:111], v[58:59], s[20:21]
	v_add_f64 v[90:91], v[100:101], v[90:91]
	v_fma_f64 v[100:101], v[60:61], s[26:27], v[108:109]
	v_mul_f64 v[112:113], v[24:25], s[16:17]
	v_add_f64 v[92:93], v[94:95], v[92:93]
	v_fma_f64 v[94:95], v[62:63], s[34:35], -v[102:103]
	v_add_f64 v[96:97], v[98:99], v[96:97]
	v_fma_f64 v[98:99], v[60:61], s[42:43], v[108:109]
	v_fma_f64 v[102:103], v[26:27], s[26:27], v[104:105]
	v_add_f64 v[42:43], v[42:43], v[46:47]
	v_add_f64 v[46:47], v[106:107], v[40:41]
	;; [unrolled: 1-line block ×3, first 2 shown]
	v_fma_f64 v[100:101], v[22:23], s[16:17], v[110:111]
	v_fma_f64 v[104:105], v[26:27], s[24:25], v[112:113]
	v_add_f64 v[92:93], v[94:95], v[92:93]
	v_add_f64 v[94:95], v[98:99], v[96:97]
	v_fma_f64 v[96:97], v[22:23], s[16:17], -v[110:111]
	v_fma_f64 v[98:99], v[26:27], s[20:21], v[112:113]
	v_mul_f64 v[106:107], v[88:89], s[42:43]
	v_add_f64 v[40:41], v[102:103], v[44:45]
	v_add_f64 v[46:47], v[100:101], v[46:47]
	v_mul_f64 v[100:101], v[88:89], s[22:23]
	v_add_f64 v[44:45], v[104:105], v[90:91]
	v_mul_f64 v[102:103], v[86:87], s[34:35]
	v_add_f64 v[90:91], v[96:97], v[92:93]
	v_add_f64 v[88:89], v[98:99], v[94:95]
	v_fma_f64 v[92:93], v[50:51], s[34:35], v[106:107]
	v_mul_f64 v[94:95], v[84:85], s[36:37]
	v_fma_f64 v[96:97], v[50:51], s[34:35], -v[106:107]
	v_fma_f64 v[98:99], v[50:51], s[14:15], v[100:101]
	v_fma_f64 v[50:51], v[50:51], s[14:15], -v[100:101]
	v_mul_f64 v[86:87], v[86:87], s[14:15]
	v_mul_f64 v[108:109], v[80:81], s[0:1]
	v_fma_f64 v[104:105], v[48:49], s[26:27], v[102:103]
	v_add_f64 v[92:93], v[92:93], v[2:3]
	v_fma_f64 v[100:101], v[34:35], s[28:29], v[94:95]
	v_fma_f64 v[102:103], v[48:49], s[42:43], v[102:103]
	v_mul_f64 v[106:107], v[82:83], s[28:29]
	v_add_f64 v[96:97], v[96:97], v[2:3]
	v_fma_f64 v[114:115], v[48:49], s[6:7], v[86:87]
	v_fma_f64 v[48:49], v[48:49], s[22:23], v[86:87]
	v_mul_f64 v[118:119], v[70:71], s[38:39]
	v_fma_f64 v[94:95], v[34:35], s[28:29], -v[94:95]
	v_add_f64 v[86:87], v[100:101], v[92:93]
	v_fma_f64 v[92:93], v[72:73], s[8:9], v[108:109]
	v_mul_f64 v[100:101], v[76:77], s[24:25]
	v_add_f64 v[104:105], v[104:105], v[0:1]
	v_mul_f64 v[112:113], v[78:79], s[8:9]
	v_add_f64 v[102:103], v[102:103], v[0:1]
	v_add_f64 v[114:115], v[114:115], v[0:1]
	;; [unrolled: 1-line block ×3, first 2 shown]
	v_fma_f64 v[48:49], v[20:21], s[36:37], v[106:107]
	v_add_f64 v[86:87], v[92:93], v[86:87]
	v_fma_f64 v[92:93], v[66:67], s[16:17], v[100:101]
	v_mul_f64 v[84:85], v[84:85], s[42:43]
	v_add_f64 v[94:95], v[94:95], v[96:97]
	v_fma_f64 v[96:97], v[72:73], s[8:9], -v[108:109]
	v_mul_f64 v[82:83], v[82:83], s[34:35]
	v_add_f64 v[98:99], v[98:99], v[2:3]
	v_add_f64 v[2:3], v[50:51], v[2:3]
	;; [unrolled: 1-line block ×4, first 2 shown]
	v_fma_f64 v[92:93], v[62:63], s[40:41], v[118:119]
	v_fma_f64 v[102:103], v[34:35], s[34:35], -v[84:85]
	v_mul_f64 v[80:81], v[80:81], s[44:45]
	v_add_f64 v[94:95], v[96:97], v[94:95]
	v_fma_f64 v[96:97], v[66:67], s[16:17], -v[100:101]
	v_fma_f64 v[100:101], v[20:21], s[42:43], v[82:83]
	v_mul_f64 v[78:79], v[78:79], s[40:41]
	v_mul_f64 v[116:117], v[74:75], s[16:17]
	v_add_f64 v[86:87], v[92:93], v[86:87]
	v_fma_f64 v[92:93], v[32:33], s[0:1], v[112:113]
	v_add_f64 v[2:3], v[102:103], v[2:3]
	v_mul_f64 v[76:77], v[76:77], s[36:37]
	v_add_f64 v[94:95], v[96:97], v[94:95]
	v_add_f64 v[0:1], v[100:101], v[0:1]
	v_fma_f64 v[96:97], v[32:33], s[44:45], v[78:79]
	v_mul_f64 v[74:75], v[74:75], s[28:29]
	v_fma_f64 v[110:111], v[20:21], s[30:31], v[106:107]
	v_add_f64 v[48:49], v[92:93], v[48:49]
	v_fma_f64 v[92:93], v[72:73], s[40:41], -v[80:81]
	v_mul_f64 v[50:51], v[68:69], s[40:41]
	v_fma_f64 v[102:103], v[64:65], s[24:25], v[116:117]
	v_mul_f64 v[70:71], v[70:71], s[20:21]
	v_fma_f64 v[34:35], v[34:35], s[34:35], v[84:85]
	v_add_f64 v[0:1], v[96:97], v[0:1]
	v_fma_f64 v[84:85], v[64:65], s[36:37], v[74:75]
	v_mul_f64 v[68:69], v[68:69], s[16:17]
	v_add_f64 v[2:3], v[92:93], v[2:3]
	v_fma_f64 v[92:93], v[66:67], s[28:29], -v[76:77]
	v_fma_f64 v[20:21], v[20:21], s[26:27], v[82:83]
	v_add_f64 v[104:105], v[110:111], v[104:105]
	v_fma_f64 v[110:111], v[32:33], s[18:19], v[112:113]
	v_fma_f64 v[106:107], v[60:61], s[44:45], v[50:51]
	v_add_f64 v[48:49], v[102:103], v[48:49]
	v_fma_f64 v[50:51], v[60:61], s[38:39], v[50:51]
	v_fma_f64 v[82:83], v[62:63], s[16:17], -v[70:71]
	v_add_f64 v[2:3], v[92:93], v[2:3]
	v_fma_f64 v[72:73], v[72:73], s[40:41], v[80:81]
	v_add_f64 v[34:35], v[34:35], v[98:99]
	v_add_f64 v[0:1], v[84:85], v[0:1]
	v_fma_f64 v[80:81], v[60:61], s[20:21], v[68:69]
	v_fma_f64 v[32:33], v[32:33], s[38:39], v[78:79]
	v_add_f64 v[20:21], v[20:21], v[114:115]
	v_add_f64 v[104:105], v[110:111], v[104:105]
	v_fma_f64 v[110:111], v[64:65], s[20:21], v[116:117]
	v_add_f64 v[48:49], v[50:51], v[48:49]
	v_add_f64 v[50:51], v[82:83], v[2:3]
	;; [unrolled: 3-line block ×3, first 2 shown]
	v_fma_f64 v[0:1], v[64:65], s[30:31], v[74:75]
	v_add_f64 v[20:21], v[32:33], v[20:21]
	v_fma_f64 v[100:101], v[62:63], s[40:41], -v[118:119]
	v_mul_f64 v[64:65], v[58:59], s[6:7]
	v_fma_f64 v[32:33], v[62:63], s[16:17], v[70:71]
	v_mul_f64 v[58:59], v[58:59], s[0:1]
	v_mul_f64 v[62:63], v[24:25], s[14:15]
	;; [unrolled: 1-line block ×3, first 2 shown]
	v_add_f64 v[104:105], v[110:111], v[104:105]
	v_add_f64 v[2:3], v[2:3], v[34:35]
	v_fma_f64 v[34:35], v[60:61], s[24:25], v[68:69]
	v_add_f64 v[0:1], v[0:1], v[20:21]
	v_add_f64 v[84:85], v[100:101], v[94:95]
	v_fma_f64 v[20:21], v[22:23], s[8:9], -v[58:59]
	v_fma_f64 v[60:61], v[22:23], s[14:15], v[64:65]
	v_fma_f64 v[70:71], v[26:27], s[0:1], v[24:25]
	v_fma_f64 v[64:65], v[22:23], s[14:15], -v[64:65]
	v_fma_f64 v[68:69], v[26:27], s[22:23], v[62:63]
	v_fma_f64 v[62:63], v[26:27], s[6:7], v[62:63]
	v_add_f64 v[104:105], v[106:107], v[104:105]
	v_fma_f64 v[58:59], v[22:23], s[8:9], v[58:59]
	v_add_f64 v[32:33], v[32:33], v[2:3]
	;; [unrolled: 2-line block ×3, first 2 shown]
	v_add_f64 v[26:27], v[20:21], v[50:51]
	v_add_f64 v[24:25], v[70:71], v[66:67]
	;; [unrolled: 1-line block ×4, first 2 shown]
	v_mul_u32_u24_e32 v48, 0xd0, v54
	v_lshlrev_b32_e32 v49, 4, v55
	v_add3_u32 v48, 0, v48, v49
	v_add_f64 v[2:3], v[60:61], v[86:87]
	v_add_f64 v[0:1], v[68:69], v[104:105]
	;; [unrolled: 1-line block ×4, first 2 shown]
	ds_write_b128 v48, v[4:7]
	ds_write_b128 v48, v[24:27] offset:16
	ds_write_b128 v48, v[20:23] offset:32
	;; [unrolled: 1-line block ×12, first 2 shown]
.LBB0_13:
	s_or_b64 exec, exec, s[2:3]
	s_waitcnt vmcnt(12)
	v_add_u32_e32 v0, -13, v54
	v_cmp_gt_u32_e64 s[0:1], 13, v54
	v_cndmask_b32_e64 v110, v0, v54, s[0:1]
	v_mul_i32_i24_e32 v0, 3, v110
	v_mov_b32_e32 v1, 0
	v_lshlrev_b64 v[2:3], 4, v[0:1]
	s_waitcnt vmcnt(11)
	v_mov_b32_e32 v5, s13
	v_add_co_u32_e64 v2, s[0:1], s12, v2
	v_addc_co_u32_e64 v3, s[0:1], v5, v3, s[0:1]
	v_add_u32_e32 v4, 26, v54
	s_movk_i32 s0, 0x4f
	v_mul_lo_u16_sdwa v0, v4, s0 dst_sel:DWORD dst_unused:UNUSED_PAD src0_sel:BYTE_0 src1_sel:DWORD
	v_lshrrev_b16_e32 v0, 10, v0
	s_waitcnt vmcnt(0)
	v_mul_lo_u16_e32 v14, 13, v0
	v_sub_u16_e32 v111, v4, v14
	v_mov_b32_e32 v30, 3
	v_mul_u32_u24_sdwa v14, v111, v30 dst_sel:DWORD dst_unused:UNUSED_PAD src0_sel:BYTE_0 src1_sel:DWORD
	s_load_dwordx2 s[2:3], s[4:5], 0x0
	s_waitcnt lgkmcnt(0)
	; wave barrier
	s_waitcnt lgkmcnt(0)
	global_load_dwordx4 v[6:9], v[2:3], off offset:16
	global_load_dwordx4 v[10:13], v[2:3], off
	v_lshlrev_b32_e32 v31, 4, v14
	global_load_dwordx4 v[14:17], v31, s[12:13] offset:32
	global_load_dwordx4 v[18:21], v31, s[12:13] offset:16
	global_load_dwordx4 v[22:25], v[2:3], off offset:32
	global_load_dwordx4 v[26:29], v31, s[12:13]
	v_add_u16_e32 v2, 52, v54
	v_mul_lo_u16_sdwa v3, v2, s0 dst_sel:DWORD dst_unused:UNUSED_PAD src0_sel:BYTE_0 src1_sel:DWORD
	v_lshrrev_b16_e32 v112, 10, v3
	v_mul_lo_u16_e32 v3, 13, v112
	v_sub_u16_e32 v113, v2, v3
	v_mul_u32_u24_sdwa v2, v113, v30 dst_sel:DWORD dst_unused:UNUSED_PAD src0_sel:BYTE_0 src1_sel:DWORD
	v_lshlrev_b32_e32 v2, 4, v2
	global_load_dwordx4 v[30:33], v2, s[12:13]
	global_load_dwordx4 v[34:37], v2, s[12:13] offset:16
	global_load_dwordx4 v[38:41], v2, s[12:13] offset:32
	v_lshlrev_b32_e32 v55, 4, v55
	v_lshlrev_b32_e32 v2, 4, v54
	v_add3_u32 v3, 0, v55, v2
	v_add3_u32 v2, 0, v2, v55
	ds_read_b128 v[42:45], v3
	ds_read_b128 v[46:49], v2 offset:416
	ds_read_b128 v[58:61], v2 offset:2496
	;; [unrolled: 1-line block ×11, first 2 shown]
	v_cmp_lt_u32_e64 s[0:1], 12, v54
	s_waitcnt lgkmcnt(0)
	; wave barrier
	s_waitcnt lgkmcnt(0)
	s_movk_i32 s4, 0x340
	v_mad_u32_u24 v0, v0, s4, 0
	s_mov_b32 s5, 0x3febb67a
	s_waitcnt vmcnt(8)
	v_mul_f64 v[98:99], v[60:61], v[8:9]
	s_waitcnt vmcnt(7)
	v_mul_f64 v[50:51], v[68:69], v[12:13]
	v_mul_f64 v[12:13], v[66:67], v[12:13]
	;; [unrolled: 1-line block ×3, first 2 shown]
	s_waitcnt vmcnt(4)
	v_mul_f64 v[100:101], v[84:85], v[24:25]
	v_mul_f64 v[24:25], v[82:83], v[24:25]
	s_waitcnt vmcnt(3)
	v_mul_f64 v[102:103], v[76:77], v[28:29]
	v_mul_f64 v[28:29], v[74:75], v[28:29]
	;; [unrolled: 1-line block ×6, first 2 shown]
	s_waitcnt vmcnt(2)
	v_mul_f64 v[108:109], v[80:81], v[32:33]
	v_fma_f64 v[50:51], v[66:67], v[10:11], v[50:51]
	v_fma_f64 v[10:11], v[68:69], v[10:11], -v[12:13]
	v_mul_f64 v[12:13], v[78:79], v[32:33]
	s_waitcnt vmcnt(1)
	v_mul_f64 v[32:33], v[88:89], v[36:37]
	v_mul_f64 v[36:37], v[86:87], v[36:37]
	s_waitcnt vmcnt(0)
	v_mul_f64 v[66:67], v[96:97], v[40:41]
	v_fma_f64 v[58:59], v[58:59], v[6:7], v[98:99]
	v_fma_f64 v[6:7], v[60:61], v[6:7], -v[8:9]
	v_mul_f64 v[8:9], v[94:95], v[40:41]
	v_fma_f64 v[40:41], v[82:83], v[22:23], v[100:101]
	v_fma_f64 v[22:23], v[84:85], v[22:23], -v[24:25]
	v_fma_f64 v[24:25], v[74:75], v[26:27], v[102:103]
	v_fma_f64 v[26:27], v[76:77], v[26:27], -v[28:29]
	;; [unrolled: 2-line block ×7, first 2 shown]
	v_add_f64 v[34:35], v[42:43], -v[58:59]
	v_add_f64 v[36:37], v[44:45], -v[6:7]
	;; [unrolled: 1-line block ×12, first 2 shown]
	v_fma_f64 v[28:29], v[42:43], 2.0, -v[34:35]
	v_fma_f64 v[32:33], v[44:45], 2.0, -v[36:37]
	;; [unrolled: 1-line block ×4, first 2 shown]
	v_add_f64 v[8:9], v[36:37], -v[38:39]
	v_fma_f64 v[38:39], v[46:47], 2.0, -v[58:59]
	v_fma_f64 v[42:43], v[48:49], 2.0, -v[62:63]
	;; [unrolled: 1-line block ×4, first 2 shown]
	v_add_f64 v[10:11], v[58:59], v[14:15]
	v_fma_f64 v[46:47], v[70:71], 2.0, -v[64:65]
	v_fma_f64 v[48:49], v[72:73], 2.0, -v[66:67]
	v_add_f64 v[14:15], v[28:29], -v[16:17]
	v_add_f64 v[16:17], v[32:33], -v[20:21]
	v_fma_f64 v[44:45], v[60:61], 2.0, -v[40:41]
	v_fma_f64 v[50:51], v[30:31], 2.0, -v[68:69]
	v_add_f64 v[6:7], v[34:35], v[6:7]
	v_add_f64 v[22:23], v[38:39], -v[22:23]
	v_add_f64 v[24:25], v[42:43], -v[24:25]
	;; [unrolled: 1-line block ×3, first 2 shown]
	v_fma_f64 v[26:27], v[28:29], 2.0, -v[14:15]
	v_fma_f64 v[28:29], v[32:33], 2.0, -v[16:17]
	v_add_f64 v[30:31], v[46:47], -v[44:45]
	v_add_f64 v[32:33], v[48:49], -v[50:51]
	v_fma_f64 v[18:19], v[34:35], 2.0, -v[6:7]
	v_fma_f64 v[20:21], v[36:37], 2.0, -v[8:9]
	v_add_f64 v[34:35], v[64:65], v[68:69]
	v_add_f64 v[36:37], v[66:67], -v[40:41]
	v_fma_f64 v[38:39], v[38:39], 2.0, -v[22:23]
	v_fma_f64 v[40:41], v[42:43], 2.0, -v[24:25]
	;; [unrolled: 1-line block ×4, first 2 shown]
	v_mov_b32_e32 v50, 0x340
	v_fma_f64 v[46:47], v[46:47], 2.0, -v[30:31]
	v_fma_f64 v[48:49], v[48:49], 2.0, -v[32:33]
	v_cndmask_b32_e64 v50, 0, v50, s[0:1]
	v_fma_f64 v[58:59], v[64:65], 2.0, -v[34:35]
	v_fma_f64 v[60:61], v[66:67], 2.0, -v[36:37]
	v_add_u32_e32 v50, 0, v50
	v_lshlrev_b32_e32 v51, 4, v110
	v_add3_u32 v50, v50, v51, v55
	ds_write_b128 v50, v[26:29]
	ds_write_b128 v50, v[18:21] offset:208
	ds_write_b128 v50, v[14:17] offset:416
	;; [unrolled: 1-line block ×3, first 2 shown]
	v_mov_b32_e32 v6, 4
	v_lshlrev_b32_sdwa v7, v6, v111 dst_sel:DWORD dst_unused:UNUSED_PAD src0_sel:DWORD src1_sel:BYTE_0
	v_add3_u32 v0, v0, v7, v55
	ds_write_b128 v0, v[38:41]
	ds_write_b128 v0, v[42:45] offset:208
	ds_write_b128 v0, v[22:25] offset:416
	;; [unrolled: 1-line block ×3, first 2 shown]
	v_mad_u32_u24 v0, v112, s4, 0
	v_lshlrev_b32_sdwa v6, v6, v113 dst_sel:DWORD dst_unused:UNUSED_PAD src0_sel:DWORD src1_sel:BYTE_0
	v_add3_u32 v0, v0, v6, v55
	ds_write_b128 v0, v[46:49]
	ds_write_b128 v0, v[58:61] offset:208
	ds_write_b128 v0, v[30:33] offset:416
	;; [unrolled: 1-line block ×3, first 2 shown]
	v_lshlrev_b32_e32 v0, 1, v54
	v_lshlrev_b64 v[6:7], 4, v[0:1]
	s_waitcnt lgkmcnt(0)
	v_add_co_u32_e64 v14, s[0:1], s12, v6
	v_addc_co_u32_e64 v15, s[0:1], v5, v7, s[0:1]
	; wave barrier
	global_load_dwordx4 v[6:9], v[14:15], off offset:640
	global_load_dwordx4 v[10:13], v[14:15], off offset:624
	v_lshlrev_b32_e32 v0, 1, v4
	v_lshlrev_b64 v[14:15], 4, v[0:1]
	v_add_co_u32_e64 v4, s[0:1], s12, v14
	v_addc_co_u32_e64 v5, s[0:1], v5, v15, s[0:1]
	global_load_dwordx4 v[14:17], v[4:5], off offset:624
	global_load_dwordx4 v[18:21], v[4:5], off offset:640
	ds_read_b128 v[22:25], v3
	ds_read_b128 v[26:29], v2 offset:416
	ds_read_b128 v[30:33], v2 offset:1664
	;; [unrolled: 1-line block ×11, first 2 shown]
	s_mov_b32 s0, 0xe8584caa
	s_mov_b32 s1, 0xbfebb67a
	;; [unrolled: 1-line block ×3, first 2 shown]
	s_waitcnt lgkmcnt(0)
	; wave barrier
	s_waitcnt vmcnt(3) lgkmcnt(0)
	v_mul_f64 v[78:79], v[40:41], v[8:9]
	s_waitcnt vmcnt(2)
	v_mul_f64 v[4:5], v[32:33], v[12:13]
	v_mul_f64 v[50:51], v[30:31], v[12:13]
	v_mul_f64 v[80:81], v[38:39], v[8:9]
	v_mul_f64 v[90:91], v[64:65], v[12:13]
	v_mul_f64 v[12:13], v[62:63], v[12:13]
	v_mul_f64 v[92:93], v[72:73], v[8:9]
	v_mul_f64 v[8:9], v[70:71], v[8:9]
	s_waitcnt vmcnt(1)
	v_mul_f64 v[82:83], v[36:37], v[16:17]
	v_mul_f64 v[84:85], v[34:35], v[16:17]
	s_waitcnt vmcnt(0)
	v_mul_f64 v[86:87], v[44:45], v[20:21]
	v_mul_f64 v[88:89], v[42:43], v[20:21]
	v_fma_f64 v[4:5], v[30:31], v[10:11], v[4:5]
	v_fma_f64 v[30:31], v[32:33], v[10:11], -v[50:51]
	v_fma_f64 v[32:33], v[38:39], v[6:7], v[78:79]
	v_fma_f64 v[38:39], v[40:41], v[6:7], -v[80:81]
	v_mul_f64 v[94:95], v[68:69], v[16:17]
	v_mul_f64 v[16:17], v[66:67], v[16:17]
	;; [unrolled: 1-line block ×4, first 2 shown]
	v_fma_f64 v[34:35], v[34:35], v[14:15], v[82:83]
	v_fma_f64 v[36:37], v[36:37], v[14:15], -v[84:85]
	v_fma_f64 v[40:41], v[42:43], v[18:19], v[86:87]
	v_fma_f64 v[42:43], v[44:45], v[18:19], -v[88:89]
	v_fma_f64 v[50:51], v[64:65], v[10:11], -v[12:13]
	;; [unrolled: 1-line block ×3, first 2 shown]
	v_add_f64 v[8:9], v[30:31], v[38:39]
	v_fma_f64 v[44:45], v[62:63], v[10:11], v[90:91]
	v_fma_f64 v[62:63], v[70:71], v[6:7], v[92:93]
	;; [unrolled: 1-line block ×3, first 2 shown]
	v_add_f64 v[6:7], v[4:5], v[32:33]
	v_fma_f64 v[68:69], v[68:69], v[14:15], -v[16:17]
	v_add_f64 v[14:15], v[24:25], v[30:31]
	v_fma_f64 v[70:71], v[74:75], v[18:19], v[96:97]
	v_fma_f64 v[72:73], v[76:77], v[18:19], -v[20:21]
	v_add_f64 v[10:11], v[22:23], v[4:5]
	v_add_f64 v[12:13], v[30:31], -v[38:39]
	v_add_f64 v[18:19], v[4:5], -v[32:33]
	v_add_f64 v[20:21], v[34:35], v[40:41]
	v_fma_f64 v[24:25], v[8:9], -0.5, v[24:25]
	v_add_f64 v[30:31], v[36:37], v[42:43]
	v_fma_f64 v[16:17], v[6:7], -0.5, v[22:23]
	v_add_f64 v[6:7], v[14:15], v[38:39]
	v_add_f64 v[38:39], v[44:45], v[62:63]
	;; [unrolled: 1-line block ×4, first 2 shown]
	v_fma_f64 v[26:27], v[20:21], -0.5, v[26:27]
	v_add_f64 v[32:33], v[36:37], -v[42:43]
	v_fma_f64 v[10:11], v[18:19], s[4:5], v[24:25]
	v_fma_f64 v[14:15], v[18:19], s[0:1], v[24:25]
	v_add_f64 v[18:19], v[28:29], v[36:37]
	v_fma_f64 v[28:29], v[30:31], -0.5, v[28:29]
	v_add_f64 v[30:31], v[34:35], -v[40:41]
	v_add_f64 v[34:35], v[46:47], v[44:45]
	v_fma_f64 v[36:37], v[38:39], -0.5, v[46:47]
	v_add_f64 v[38:39], v[50:51], -v[64:65]
	v_fma_f64 v[8:9], v[12:13], s[0:1], v[16:17]
	v_fma_f64 v[12:13], v[12:13], s[4:5], v[16:17]
	v_add_f64 v[16:17], v[22:23], v[40:41]
	v_add_f64 v[40:41], v[50:51], v[64:65]
	v_fma_f64 v[20:21], v[32:33], s[0:1], v[26:27]
	v_fma_f64 v[24:25], v[32:33], s[4:5], v[26:27]
	;; [unrolled: 1-line block ×4, first 2 shown]
	v_add_f64 v[28:29], v[34:35], v[62:63]
	v_add_f64 v[30:31], v[66:67], v[70:71]
	;; [unrolled: 1-line block ×3, first 2 shown]
	v_fma_f64 v[32:33], v[38:39], s[0:1], v[36:37]
	v_fma_f64 v[36:37], v[38:39], s[4:5], v[36:37]
	v_add_f64 v[38:39], v[48:49], v[50:51]
	v_add_f64 v[18:19], v[18:19], v[42:43]
	v_fma_f64 v[40:41], v[40:41], -0.5, v[48:49]
	v_add_f64 v[42:43], v[44:45], -v[62:63]
	v_add_f64 v[44:45], v[58:59], v[66:67]
	v_fma_f64 v[46:47], v[30:31], -0.5, v[58:59]
	v_add_f64 v[48:49], v[68:69], -v[72:73]
	;; [unrolled: 3-line block ×3, first 2 shown]
	v_add_f64 v[30:31], v[38:39], v[64:65]
	v_fma_f64 v[34:35], v[42:43], s[4:5], v[40:41]
	v_fma_f64 v[38:39], v[42:43], s[0:1], v[40:41]
	v_add_f64 v[40:41], v[44:45], v[70:71]
	v_fma_f64 v[44:45], v[48:49], s[0:1], v[46:47]
	v_fma_f64 v[48:49], v[48:49], s[4:5], v[46:47]
	;; [unrolled: 3-line block ×3, first 2 shown]
	ds_write_b128 v2, v[4:7]
	ds_write_b128 v2, v[8:11] offset:832
	ds_write_b128 v2, v[12:15] offset:1664
	;; [unrolled: 1-line block ×11, first 2 shown]
	s_waitcnt lgkmcnt(0)
	; wave barrier
	s_waitcnt lgkmcnt(0)
	s_and_saveexec_b64 s[0:1], vcc
	s_cbranch_execz .LBB0_15
; %bb.14:
	v_mov_b32_e32 v55, v1
	v_lshlrev_b64 v[79:80], 4, v[54:55]
	v_mov_b32_e32 v0, s13
	v_add_co_u32_e32 v28, vcc, s12, v79
	v_addc_co_u32_e32 v29, vcc, v0, v80, vcc
	s_movk_i32 s0, 0x1000
	v_add_co_u32_e32 v30, vcc, s0, v28
	v_addc_co_u32_e32 v31, vcc, 0, v29, vcc
	global_load_dwordx4 v[4:7], v[28:29], off offset:3536
	global_load_dwordx4 v[8:11], v[28:29], off offset:3120
	;; [unrolled: 1-line block ×6, first 2 shown]
	v_mul_lo_u32 v0, s3, v56
	v_mul_lo_u32 v83, s2, v57
	v_mad_u64_u32 v[81:82], s[0:1], s2, v56, 0
	ds_read_b128 v[28:31], v2 offset:2080
	ds_read_b128 v[32:35], v2 offset:1664
	ds_read_b128 v[36:39], v2 offset:4576
	ds_read_b128 v[40:43], v2 offset:4160
	ds_read_b128 v[44:47], v2 offset:1248
	ds_read_b128 v[48:51], v2 offset:832
	ds_read_b128 v[55:58], v2 offset:3744
	ds_read_b128 v[59:62], v2 offset:3328
	ds_read_b128 v[63:66], v2 offset:416
	ds_read_b128 v[67:70], v3
	ds_read_b128 v[71:74], v2 offset:2912
	ds_read_b128 v[75:78], v2 offset:2496
	v_lshlrev_b64 v[2:3], 4, v[52:53]
	v_add_u32_e32 v52, 0x68, v54
	v_add_u32_e32 v53, 0x82, v54
	s_mov_b32 s0, 0x34834835
	v_lshrrev_b32_e32 v52, 2, v52
	v_lshrrev_b32_e32 v53, 2, v53
	v_add3_u32 v82, v82, v83, v0
	v_mul_hi_u32 v54, v52, s0
	v_mul_hi_u32 v91, v53, s0
	v_lshlrev_b64 v[52:53], 4, v[81:82]
	v_mov_b32_e32 v84, s11
	v_add_co_u32_e32 v52, vcc, s10, v52
	v_addc_co_u32_e32 v53, vcc, v84, v53, vcc
	v_add_co_u32_e32 v2, vcc, v52, v2
	v_addc_co_u32_e32 v3, vcc, v53, v3, vcc
	v_add_co_u32_e32 v52, vcc, v2, v79
	v_lshrrev_b32_e32 v0, 3, v54
	v_addc_co_u32_e32 v53, vcc, v3, v80, vcc
	s_movk_i32 s1, 0x9c
	v_mul_lo_u32 v0, v0, s1
	s_movk_i32 s0, 0x680
	v_lshlrev_b64 v[79:80], 4, v[0:1]
	v_lshrrev_b32_e32 v0, 3, v91
	v_mul_lo_u32 v0, v0, s1
	v_lshlrev_b64 v[0:1], 4, v[0:1]
	s_waitcnt vmcnt(5) lgkmcnt(5)
	v_mul_f64 v[2:3], v[6:7], v[55:56]
	v_mul_f64 v[54:55], v[4:5], v[55:56]
	s_waitcnt vmcnt(4) lgkmcnt(4)
	v_mul_f64 v[81:82], v[10:11], v[59:60]
	v_mul_f64 v[59:60], v[8:9], v[59:60]
	;; [unrolled: 3-line block ×4, first 2 shown]
	s_waitcnt vmcnt(1)
	v_mul_f64 v[87:88], v[22:23], v[36:37]
	v_mul_f64 v[36:37], v[20:21], v[36:37]
	s_waitcnt vmcnt(0)
	v_mul_f64 v[89:90], v[26:27], v[40:41]
	v_mul_f64 v[40:41], v[24:25], v[40:41]
	v_fma_f64 v[2:3], v[4:5], v[57:58], -v[2:3]
	v_fma_f64 v[6:7], v[57:58], v[6:7], v[54:55]
	v_fma_f64 v[8:9], v[8:9], v[61:62], -v[81:82]
	v_fma_f64 v[10:11], v[61:62], v[10:11], v[59:60]
	v_fma_f64 v[14:15], v[73:74], v[14:15], v[71:72]
	v_fma_f64 v[16:17], v[16:17], v[77:78], -v[85:86]
	v_fma_f64 v[18:19], v[77:78], v[18:19], v[75:76]
	;; [unrolled: 3-line block ×3, first 2 shown]
	v_fma_f64 v[12:13], v[12:13], v[73:74], -v[83:84]
	v_fma_f64 v[20:21], v[20:21], v[38:39], -v[87:88]
	v_add_f64 v[4:5], v[46:47], -v[2:3]
	v_add_f64 v[2:3], v[44:45], -v[6:7]
	;; [unrolled: 1-line block ×12, first 2 shown]
	v_fma_f64 v[42:43], v[50:51], 2.0, -v[8:9]
	v_fma_f64 v[40:41], v[48:49], 2.0, -v[6:7]
	;; [unrolled: 1-line block ×4, first 2 shown]
	global_store_dwordx4 v[52:53], v[14:17], off offset:2496
	global_store_dwordx4 v[52:53], v[10:13], off offset:2912
	global_store_dwordx4 v[52:53], v[6:9], off offset:3328
	global_store_dwordx4 v[52:53], v[2:5], off offset:3744
	v_fma_f64 v[8:9], v[34:35], 2.0, -v[24:25]
	v_fma_f64 v[6:7], v[32:33], 2.0, -v[22:23]
	;; [unrolled: 1-line block ×8, first 2 shown]
	v_add_co_u32_e32 v10, vcc, v52, v79
	v_addc_co_u32_e32 v11, vcc, v53, v80, vcc
	v_add_co_u32_e32 v12, vcc, s0, v10
	v_addc_co_u32_e32 v13, vcc, 0, v11, vcc
	;; [unrolled: 2-line block ×3, first 2 shown]
	global_store_dwordx4 v[52:53], v[48:51], off
	global_store_dwordx4 v[52:53], v[44:47], off offset:416
	global_store_dwordx4 v[52:53], v[40:43], off offset:832
	;; [unrolled: 1-line block ×5, first 2 shown]
	v_add_co_u32_e32 v6, vcc, 0x820, v0
	v_addc_co_u32_e32 v7, vcc, 0, v1, vcc
	global_store_dwordx4 v[0:1], v[2:5], off offset:2080
	global_store_dwordx4 v[6:7], v[18:21], off offset:2496
.LBB0_15:
	s_endpgm
	.section	.rodata,"a",@progbits
	.p2align	6, 0x0
	.amdhsa_kernel fft_rtc_back_len312_factors_13_4_3_2_wgs_52_tpt_26_dp_op_CI_CI_unitstride_sbrr_dirReg
		.amdhsa_group_segment_fixed_size 0
		.amdhsa_private_segment_fixed_size 0
		.amdhsa_kernarg_size 104
		.amdhsa_user_sgpr_count 6
		.amdhsa_user_sgpr_private_segment_buffer 1
		.amdhsa_user_sgpr_dispatch_ptr 0
		.amdhsa_user_sgpr_queue_ptr 0
		.amdhsa_user_sgpr_kernarg_segment_ptr 1
		.amdhsa_user_sgpr_dispatch_id 0
		.amdhsa_user_sgpr_flat_scratch_init 0
		.amdhsa_user_sgpr_private_segment_size 0
		.amdhsa_uses_dynamic_stack 0
		.amdhsa_system_sgpr_private_segment_wavefront_offset 0
		.amdhsa_system_sgpr_workgroup_id_x 1
		.amdhsa_system_sgpr_workgroup_id_y 0
		.amdhsa_system_sgpr_workgroup_id_z 0
		.amdhsa_system_sgpr_workgroup_info 0
		.amdhsa_system_vgpr_workitem_id 0
		.amdhsa_next_free_vgpr 120
		.amdhsa_next_free_sgpr 46
		.amdhsa_reserve_vcc 1
		.amdhsa_reserve_flat_scratch 0
		.amdhsa_float_round_mode_32 0
		.amdhsa_float_round_mode_16_64 0
		.amdhsa_float_denorm_mode_32 3
		.amdhsa_float_denorm_mode_16_64 3
		.amdhsa_dx10_clamp 1
		.amdhsa_ieee_mode 1
		.amdhsa_fp16_overflow 0
		.amdhsa_exception_fp_ieee_invalid_op 0
		.amdhsa_exception_fp_denorm_src 0
		.amdhsa_exception_fp_ieee_div_zero 0
		.amdhsa_exception_fp_ieee_overflow 0
		.amdhsa_exception_fp_ieee_underflow 0
		.amdhsa_exception_fp_ieee_inexact 0
		.amdhsa_exception_int_div_zero 0
	.end_amdhsa_kernel
	.text
.Lfunc_end0:
	.size	fft_rtc_back_len312_factors_13_4_3_2_wgs_52_tpt_26_dp_op_CI_CI_unitstride_sbrr_dirReg, .Lfunc_end0-fft_rtc_back_len312_factors_13_4_3_2_wgs_52_tpt_26_dp_op_CI_CI_unitstride_sbrr_dirReg
                                        ; -- End function
	.section	.AMDGPU.csdata,"",@progbits
; Kernel info:
; codeLenInByte = 8368
; NumSgprs: 50
; NumVgprs: 120
; ScratchSize: 0
; MemoryBound: 1
; FloatMode: 240
; IeeeMode: 1
; LDSByteSize: 0 bytes/workgroup (compile time only)
; SGPRBlocks: 6
; VGPRBlocks: 29
; NumSGPRsForWavesPerEU: 50
; NumVGPRsForWavesPerEU: 120
; Occupancy: 2
; WaveLimiterHint : 1
; COMPUTE_PGM_RSRC2:SCRATCH_EN: 0
; COMPUTE_PGM_RSRC2:USER_SGPR: 6
; COMPUTE_PGM_RSRC2:TRAP_HANDLER: 0
; COMPUTE_PGM_RSRC2:TGID_X_EN: 1
; COMPUTE_PGM_RSRC2:TGID_Y_EN: 0
; COMPUTE_PGM_RSRC2:TGID_Z_EN: 0
; COMPUTE_PGM_RSRC2:TIDIG_COMP_CNT: 0
	.type	__hip_cuid_6f6315bcf9669aff,@object ; @__hip_cuid_6f6315bcf9669aff
	.section	.bss,"aw",@nobits
	.globl	__hip_cuid_6f6315bcf9669aff
__hip_cuid_6f6315bcf9669aff:
	.byte	0                               ; 0x0
	.size	__hip_cuid_6f6315bcf9669aff, 1

	.ident	"AMD clang version 19.0.0git (https://github.com/RadeonOpenCompute/llvm-project roc-6.4.0 25133 c7fe45cf4b819c5991fe208aaa96edf142730f1d)"
	.section	".note.GNU-stack","",@progbits
	.addrsig
	.addrsig_sym __hip_cuid_6f6315bcf9669aff
	.amdgpu_metadata
---
amdhsa.kernels:
  - .args:
      - .actual_access:  read_only
        .address_space:  global
        .offset:         0
        .size:           8
        .value_kind:     global_buffer
      - .offset:         8
        .size:           8
        .value_kind:     by_value
      - .actual_access:  read_only
        .address_space:  global
        .offset:         16
        .size:           8
        .value_kind:     global_buffer
      - .actual_access:  read_only
        .address_space:  global
        .offset:         24
        .size:           8
        .value_kind:     global_buffer
      - .actual_access:  read_only
        .address_space:  global
        .offset:         32
        .size:           8
        .value_kind:     global_buffer
      - .offset:         40
        .size:           8
        .value_kind:     by_value
      - .actual_access:  read_only
        .address_space:  global
        .offset:         48
        .size:           8
        .value_kind:     global_buffer
      - .actual_access:  read_only
        .address_space:  global
        .offset:         56
        .size:           8
        .value_kind:     global_buffer
      - .offset:         64
        .size:           4
        .value_kind:     by_value
      - .actual_access:  read_only
        .address_space:  global
        .offset:         72
        .size:           8
        .value_kind:     global_buffer
      - .actual_access:  read_only
        .address_space:  global
        .offset:         80
        .size:           8
        .value_kind:     global_buffer
      - .actual_access:  read_only
        .address_space:  global
        .offset:         88
        .size:           8
        .value_kind:     global_buffer
      - .actual_access:  write_only
        .address_space:  global
        .offset:         96
        .size:           8
        .value_kind:     global_buffer
    .group_segment_fixed_size: 0
    .kernarg_segment_align: 8
    .kernarg_segment_size: 104
    .language:       OpenCL C
    .language_version:
      - 2
      - 0
    .max_flat_workgroup_size: 52
    .name:           fft_rtc_back_len312_factors_13_4_3_2_wgs_52_tpt_26_dp_op_CI_CI_unitstride_sbrr_dirReg
    .private_segment_fixed_size: 0
    .sgpr_count:     50
    .sgpr_spill_count: 0
    .symbol:         fft_rtc_back_len312_factors_13_4_3_2_wgs_52_tpt_26_dp_op_CI_CI_unitstride_sbrr_dirReg.kd
    .uniform_work_group_size: 1
    .uses_dynamic_stack: false
    .vgpr_count:     120
    .vgpr_spill_count: 0
    .wavefront_size: 64
amdhsa.target:   amdgcn-amd-amdhsa--gfx906
amdhsa.version:
  - 1
  - 2
...

	.end_amdgpu_metadata
